;; amdgpu-corpus repo=ROCm/rocFFT kind=compiled arch=gfx1201 opt=O3
	.text
	.amdgcn_target "amdgcn-amd-amdhsa--gfx1201"
	.amdhsa_code_object_version 6
	.protected	fft_rtc_back_len455_factors_13_5_7_wgs_195_tpt_65_dp_ip_CI_sbrr_dirReg ; -- Begin function fft_rtc_back_len455_factors_13_5_7_wgs_195_tpt_65_dp_ip_CI_sbrr_dirReg
	.globl	fft_rtc_back_len455_factors_13_5_7_wgs_195_tpt_65_dp_ip_CI_sbrr_dirReg
	.p2align	8
	.type	fft_rtc_back_len455_factors_13_5_7_wgs_195_tpt_65_dp_ip_CI_sbrr_dirReg,@function
fft_rtc_back_len455_factors_13_5_7_wgs_195_tpt_65_dp_ip_CI_sbrr_dirReg: ; @fft_rtc_back_len455_factors_13_5_7_wgs_195_tpt_65_dp_ip_CI_sbrr_dirReg
; %bb.0:
	s_clause 0x1
	s_load_b64 s[12:13], s[0:1], 0x18
	s_load_b128 s[4:7], s[0:1], 0x0
	v_mul_u32_u24_e32 v1, 0x3f1, v0
	v_mov_b32_e32 v3, 0
	s_load_b64 s[8:9], s[0:1], 0x50
	s_wait_kmcnt 0x0
	s_load_b64 s[10:11], s[12:13], 0x0
	v_lshrrev_b32_e32 v1, 16, v1
	v_cmp_lt_u64_e64 s2, s[6:7], 2
	s_delay_alu instid0(VALU_DEP_2) | instskip(SKIP_2) | instid1(VALU_DEP_4)
	v_mad_co_u64_u32 v[74:75], null, ttmp9, 3, v[1:2]
	v_mov_b32_e32 v1, 0
	v_dual_mov_b32 v2, 0 :: v_dual_mov_b32 v75, v3
	s_and_b32 vcc_lo, exec_lo, s2
	s_delay_alu instid0(VALU_DEP_1)
	v_dual_mov_b32 v7, v74 :: v_dual_mov_b32 v8, v75
	s_cbranch_vccnz .LBB0_8
; %bb.1:
	s_load_b64 s[2:3], s[0:1], 0x10
	v_mov_b32_e32 v1, 0
	v_dual_mov_b32 v2, 0 :: v_dual_mov_b32 v5, v74
	v_mov_b32_e32 v6, v75
	s_add_nc_u64 s[14:15], s[12:13], 8
	s_mov_b64 s[16:17], 1
	s_wait_kmcnt 0x0
	s_add_nc_u64 s[18:19], s[2:3], 8
	s_mov_b32 s3, 0
.LBB0_2:                                ; =>This Inner Loop Header: Depth=1
	s_load_b64 s[20:21], s[18:19], 0x0
                                        ; implicit-def: $vgpr7_vgpr8
	s_mov_b32 s2, exec_lo
	s_wait_kmcnt 0x0
	v_or_b32_e32 v4, s21, v6
	s_delay_alu instid0(VALU_DEP_1)
	v_cmpx_ne_u64_e32 0, v[3:4]
	s_wait_alu 0xfffe
	s_xor_b32 s22, exec_lo, s2
	s_cbranch_execz .LBB0_4
; %bb.3:                                ;   in Loop: Header=BB0_2 Depth=1
	s_cvt_f32_u32 s2, s20
	s_cvt_f32_u32 s23, s21
	s_sub_nc_u64 s[26:27], 0, s[20:21]
	s_wait_alu 0xfffe
	s_delay_alu instid0(SALU_CYCLE_1) | instskip(SKIP_1) | instid1(SALU_CYCLE_2)
	s_fmamk_f32 s2, s23, 0x4f800000, s2
	s_wait_alu 0xfffe
	v_s_rcp_f32 s2, s2
	s_delay_alu instid0(TRANS32_DEP_1) | instskip(SKIP_1) | instid1(SALU_CYCLE_2)
	s_mul_f32 s2, s2, 0x5f7ffffc
	s_wait_alu 0xfffe
	s_mul_f32 s23, s2, 0x2f800000
	s_wait_alu 0xfffe
	s_delay_alu instid0(SALU_CYCLE_2) | instskip(SKIP_1) | instid1(SALU_CYCLE_2)
	s_trunc_f32 s23, s23
	s_wait_alu 0xfffe
	s_fmamk_f32 s2, s23, 0xcf800000, s2
	s_cvt_u32_f32 s25, s23
	s_wait_alu 0xfffe
	s_delay_alu instid0(SALU_CYCLE_1) | instskip(SKIP_1) | instid1(SALU_CYCLE_2)
	s_cvt_u32_f32 s24, s2
	s_wait_alu 0xfffe
	s_mul_u64 s[28:29], s[26:27], s[24:25]
	s_wait_alu 0xfffe
	s_mul_hi_u32 s31, s24, s29
	s_mul_i32 s30, s24, s29
	s_mul_hi_u32 s2, s24, s28
	s_mul_i32 s33, s25, s28
	s_wait_alu 0xfffe
	s_add_nc_u64 s[30:31], s[2:3], s[30:31]
	s_mul_hi_u32 s23, s25, s28
	s_mul_hi_u32 s34, s25, s29
	s_add_co_u32 s2, s30, s33
	s_wait_alu 0xfffe
	s_add_co_ci_u32 s2, s31, s23
	s_mul_i32 s28, s25, s29
	s_add_co_ci_u32 s29, s34, 0
	s_wait_alu 0xfffe
	s_add_nc_u64 s[28:29], s[2:3], s[28:29]
	s_wait_alu 0xfffe
	v_add_co_u32 v4, s2, s24, s28
	s_delay_alu instid0(VALU_DEP_1) | instskip(SKIP_1) | instid1(VALU_DEP_1)
	s_cmp_lg_u32 s2, 0
	s_add_co_ci_u32 s25, s25, s29
	v_readfirstlane_b32 s24, v4
	s_wait_alu 0xfffe
	s_delay_alu instid0(VALU_DEP_1)
	s_mul_u64 s[26:27], s[26:27], s[24:25]
	s_wait_alu 0xfffe
	s_mul_hi_u32 s29, s24, s27
	s_mul_i32 s28, s24, s27
	s_mul_hi_u32 s2, s24, s26
	s_mul_i32 s30, s25, s26
	s_wait_alu 0xfffe
	s_add_nc_u64 s[28:29], s[2:3], s[28:29]
	s_mul_hi_u32 s23, s25, s26
	s_mul_hi_u32 s24, s25, s27
	s_wait_alu 0xfffe
	s_add_co_u32 s2, s28, s30
	s_add_co_ci_u32 s2, s29, s23
	s_mul_i32 s26, s25, s27
	s_add_co_ci_u32 s27, s24, 0
	s_wait_alu 0xfffe
	s_add_nc_u64 s[26:27], s[2:3], s[26:27]
	s_wait_alu 0xfffe
	v_add_co_u32 v4, s2, v4, s26
	s_delay_alu instid0(VALU_DEP_1) | instskip(SKIP_1) | instid1(VALU_DEP_1)
	s_cmp_lg_u32 s2, 0
	s_add_co_ci_u32 s2, s25, s27
	v_mul_hi_u32 v13, v5, v4
	s_wait_alu 0xfffe
	v_mad_co_u64_u32 v[7:8], null, v5, s2, 0
	v_mad_co_u64_u32 v[9:10], null, v6, v4, 0
	;; [unrolled: 1-line block ×3, first 2 shown]
	s_delay_alu instid0(VALU_DEP_3) | instskip(SKIP_1) | instid1(VALU_DEP_4)
	v_add_co_u32 v4, vcc_lo, v13, v7
	s_wait_alu 0xfffd
	v_add_co_ci_u32_e32 v7, vcc_lo, 0, v8, vcc_lo
	s_delay_alu instid0(VALU_DEP_2) | instskip(SKIP_1) | instid1(VALU_DEP_2)
	v_add_co_u32 v4, vcc_lo, v4, v9
	s_wait_alu 0xfffd
	v_add_co_ci_u32_e32 v4, vcc_lo, v7, v10, vcc_lo
	s_wait_alu 0xfffd
	v_add_co_ci_u32_e32 v7, vcc_lo, 0, v12, vcc_lo
	s_delay_alu instid0(VALU_DEP_2) | instskip(SKIP_1) | instid1(VALU_DEP_2)
	v_add_co_u32 v4, vcc_lo, v4, v11
	s_wait_alu 0xfffd
	v_add_co_ci_u32_e32 v9, vcc_lo, 0, v7, vcc_lo
	s_delay_alu instid0(VALU_DEP_2) | instskip(SKIP_1) | instid1(VALU_DEP_3)
	v_mul_lo_u32 v10, s21, v4
	v_mad_co_u64_u32 v[7:8], null, s20, v4, 0
	v_mul_lo_u32 v11, s20, v9
	s_delay_alu instid0(VALU_DEP_2) | instskip(NEXT) | instid1(VALU_DEP_2)
	v_sub_co_u32 v7, vcc_lo, v5, v7
	v_add3_u32 v8, v8, v11, v10
	s_delay_alu instid0(VALU_DEP_1) | instskip(SKIP_1) | instid1(VALU_DEP_1)
	v_sub_nc_u32_e32 v10, v6, v8
	s_wait_alu 0xfffd
	v_subrev_co_ci_u32_e64 v10, s2, s21, v10, vcc_lo
	v_add_co_u32 v11, s2, v4, 2
	s_wait_alu 0xf1ff
	v_add_co_ci_u32_e64 v12, s2, 0, v9, s2
	v_sub_co_u32 v13, s2, v7, s20
	v_sub_co_ci_u32_e32 v8, vcc_lo, v6, v8, vcc_lo
	s_wait_alu 0xf1ff
	v_subrev_co_ci_u32_e64 v10, s2, 0, v10, s2
	s_delay_alu instid0(VALU_DEP_3) | instskip(NEXT) | instid1(VALU_DEP_3)
	v_cmp_le_u32_e32 vcc_lo, s20, v13
	v_cmp_eq_u32_e64 s2, s21, v8
	s_wait_alu 0xfffd
	v_cndmask_b32_e64 v13, 0, -1, vcc_lo
	v_cmp_le_u32_e32 vcc_lo, s21, v10
	s_wait_alu 0xfffd
	v_cndmask_b32_e64 v14, 0, -1, vcc_lo
	v_cmp_le_u32_e32 vcc_lo, s20, v7
	;; [unrolled: 3-line block ×3, first 2 shown]
	s_wait_alu 0xfffd
	v_cndmask_b32_e64 v15, 0, -1, vcc_lo
	v_cmp_eq_u32_e32 vcc_lo, s21, v10
	s_wait_alu 0xf1ff
	s_delay_alu instid0(VALU_DEP_2)
	v_cndmask_b32_e64 v7, v15, v7, s2
	s_wait_alu 0xfffd
	v_cndmask_b32_e32 v10, v14, v13, vcc_lo
	v_add_co_u32 v13, vcc_lo, v4, 1
	s_wait_alu 0xfffd
	v_add_co_ci_u32_e32 v14, vcc_lo, 0, v9, vcc_lo
	s_delay_alu instid0(VALU_DEP_3) | instskip(SKIP_2) | instid1(VALU_DEP_3)
	v_cmp_ne_u32_e32 vcc_lo, 0, v10
	s_wait_alu 0xfffd
	v_cndmask_b32_e32 v10, v13, v11, vcc_lo
	v_cndmask_b32_e32 v8, v14, v12, vcc_lo
	v_cmp_ne_u32_e32 vcc_lo, 0, v7
	s_wait_alu 0xfffd
	s_delay_alu instid0(VALU_DEP_2)
	v_dual_cndmask_b32 v7, v4, v10 :: v_dual_cndmask_b32 v8, v9, v8
.LBB0_4:                                ;   in Loop: Header=BB0_2 Depth=1
	s_wait_alu 0xfffe
	s_and_not1_saveexec_b32 s2, s22
	s_cbranch_execz .LBB0_6
; %bb.5:                                ;   in Loop: Header=BB0_2 Depth=1
	v_cvt_f32_u32_e32 v4, s20
	s_sub_co_i32 s22, 0, s20
	s_delay_alu instid0(VALU_DEP_1) | instskip(NEXT) | instid1(TRANS32_DEP_1)
	v_rcp_iflag_f32_e32 v4, v4
	v_mul_f32_e32 v4, 0x4f7ffffe, v4
	s_delay_alu instid0(VALU_DEP_1) | instskip(SKIP_1) | instid1(VALU_DEP_1)
	v_cvt_u32_f32_e32 v4, v4
	s_wait_alu 0xfffe
	v_mul_lo_u32 v7, s22, v4
	s_delay_alu instid0(VALU_DEP_1) | instskip(NEXT) | instid1(VALU_DEP_1)
	v_mul_hi_u32 v7, v4, v7
	v_add_nc_u32_e32 v4, v4, v7
	s_delay_alu instid0(VALU_DEP_1) | instskip(NEXT) | instid1(VALU_DEP_1)
	v_mul_hi_u32 v4, v5, v4
	v_mul_lo_u32 v7, v4, s20
	v_add_nc_u32_e32 v8, 1, v4
	s_delay_alu instid0(VALU_DEP_2) | instskip(NEXT) | instid1(VALU_DEP_1)
	v_sub_nc_u32_e32 v7, v5, v7
	v_subrev_nc_u32_e32 v9, s20, v7
	v_cmp_le_u32_e32 vcc_lo, s20, v7
	s_wait_alu 0xfffd
	s_delay_alu instid0(VALU_DEP_2) | instskip(NEXT) | instid1(VALU_DEP_1)
	v_dual_cndmask_b32 v7, v7, v9 :: v_dual_cndmask_b32 v4, v4, v8
	v_cmp_le_u32_e32 vcc_lo, s20, v7
	s_delay_alu instid0(VALU_DEP_2) | instskip(SKIP_1) | instid1(VALU_DEP_1)
	v_add_nc_u32_e32 v8, 1, v4
	s_wait_alu 0xfffd
	v_dual_cndmask_b32 v7, v4, v8 :: v_dual_mov_b32 v8, v3
.LBB0_6:                                ;   in Loop: Header=BB0_2 Depth=1
	s_wait_alu 0xfffe
	s_or_b32 exec_lo, exec_lo, s2
	s_load_b64 s[22:23], s[14:15], 0x0
	s_delay_alu instid0(VALU_DEP_1)
	v_mul_lo_u32 v4, v8, s20
	v_mul_lo_u32 v11, v7, s21
	v_mad_co_u64_u32 v[9:10], null, v7, s20, 0
	s_add_nc_u64 s[16:17], s[16:17], 1
	s_add_nc_u64 s[14:15], s[14:15], 8
	s_wait_alu 0xfffe
	v_cmp_ge_u64_e64 s2, s[16:17], s[6:7]
	s_add_nc_u64 s[18:19], s[18:19], 8
	s_delay_alu instid0(VALU_DEP_2) | instskip(NEXT) | instid1(VALU_DEP_3)
	v_add3_u32 v4, v10, v11, v4
	v_sub_co_u32 v5, vcc_lo, v5, v9
	s_wait_alu 0xfffd
	s_delay_alu instid0(VALU_DEP_2) | instskip(SKIP_3) | instid1(VALU_DEP_2)
	v_sub_co_ci_u32_e32 v4, vcc_lo, v6, v4, vcc_lo
	s_and_b32 vcc_lo, exec_lo, s2
	s_wait_kmcnt 0x0
	v_mul_lo_u32 v6, s23, v5
	v_mul_lo_u32 v4, s22, v4
	v_mad_co_u64_u32 v[1:2], null, s22, v5, v[1:2]
	s_delay_alu instid0(VALU_DEP_1)
	v_add3_u32 v2, v6, v2, v4
	s_wait_alu 0xfffe
	s_cbranch_vccnz .LBB0_8
; %bb.7:                                ;   in Loop: Header=BB0_2 Depth=1
	v_dual_mov_b32 v5, v7 :: v_dual_mov_b32 v6, v8
	s_branch .LBB0_2
.LBB0_8:
	s_lshl_b64 s[2:3], s[6:7], 3
	v_mul_hi_u32 v3, 0x3f03f04, v0
	s_wait_alu 0xfffe
	s_add_nc_u64 s[2:3], s[12:13], s[2:3]
	v_mov_b32_e32 v148, 0
	s_load_b64 s[2:3], s[2:3], 0x0
	s_load_b64 s[0:1], s[0:1], 0x20
                                        ; implicit-def: $vgpr10_vgpr11
                                        ; implicit-def: $vgpr14_vgpr15
                                        ; implicit-def: $vgpr18_vgpr19
                                        ; implicit-def: $vgpr26_vgpr27
                                        ; implicit-def: $vgpr42_vgpr43
                                        ; implicit-def: $vgpr62_vgpr63
                                        ; implicit-def: $vgpr46_vgpr47
                                        ; implicit-def: $vgpr50_vgpr51
                                        ; implicit-def: $vgpr34_vgpr35
                                        ; implicit-def: $vgpr38_vgpr39
                                        ; implicit-def: $vgpr22_vgpr23
	s_wait_kmcnt 0x0
	v_mul_lo_u32 v4, s2, v8
	v_mul_lo_u32 v5, s3, v7
	v_mad_co_u64_u32 v[72:73], null, s2, v7, v[1:2]
	v_mul_u32_u24_e32 v1, 0x41, v3
	v_cmp_gt_u64_e32 vcc_lo, s[0:1], v[7:8]
                                        ; implicit-def: $vgpr2_vgpr3
                                        ; implicit-def: $vgpr6_vgpr7
	s_delay_alu instid0(VALU_DEP_2) | instskip(NEXT) | instid1(VALU_DEP_4)
	v_sub_nc_u32_e32 v147, v0, v1
	v_add3_u32 v73, v5, v73, v4
	s_and_saveexec_b32 s1, vcc_lo
	s_cbranch_execz .LBB0_12
; %bb.9:
	s_mov_b32 s2, exec_lo
                                        ; implicit-def: $vgpr4_vgpr5
                                        ; implicit-def: $vgpr20_vgpr21
                                        ; implicit-def: $vgpr36_vgpr37
                                        ; implicit-def: $vgpr32_vgpr33
                                        ; implicit-def: $vgpr48_vgpr49
                                        ; implicit-def: $vgpr44_vgpr45
                                        ; implicit-def: $vgpr60_vgpr61
                                        ; implicit-def: $vgpr40_vgpr41
                                        ; implicit-def: $vgpr24_vgpr25
                                        ; implicit-def: $vgpr16_vgpr17
                                        ; implicit-def: $vgpr12_vgpr13
                                        ; implicit-def: $vgpr8_vgpr9
                                        ; implicit-def: $vgpr0_vgpr1
	v_cmpx_gt_u32_e32 35, v147
	s_cbranch_execz .LBB0_11
; %bb.10:
	v_add_nc_u32_e32 v10, 35, v147
	v_mad_co_u64_u32 v[0:1], null, s10, v147, 0
	v_add_nc_u32_e32 v13, 0x46, v147
	v_lshlrev_b64_e32 v[4:5], 4, v[72:73]
	s_delay_alu instid0(VALU_DEP_4) | instskip(SKIP_1) | instid1(VALU_DEP_4)
	v_mad_co_u64_u32 v[2:3], null, s10, v10, 0
	v_add_nc_u32_e32 v15, 0x8c, v147
	v_mad_co_u64_u32 v[8:9], null, s10, v13, 0
	s_delay_alu instid0(VALU_DEP_4)
	v_add_co_u32 v19, s0, s8, v4
	s_wait_alu 0xf1ff
	v_add_co_ci_u32_e64 v26, s0, s9, v5, s0
	v_mad_co_u64_u32 v[6:7], null, s11, v147, v[1:2]
	v_dual_mov_b32 v1, v3 :: v_dual_add_nc_u32 v14, 0x69, v147
	v_dual_mov_b32 v4, v9 :: v_dual_add_nc_u32 v17, 0xaf, v147
	v_add_nc_u32_e32 v18, 0xd2, v147
	s_delay_alu instid0(VALU_DEP_3) | instskip(SKIP_3) | instid1(VALU_DEP_3)
	v_mad_co_u64_u32 v[10:11], null, s11, v10, v[1:2]
	v_mov_b32_e32 v1, v6
	v_mad_co_u64_u32 v[11:12], null, s10, v14, 0
	v_add_nc_u32_e32 v24, 0xf5, v147
	v_lshlrev_b64_e32 v[0:1], 4, v[0:1]
	v_mov_b32_e32 v3, v10
	s_delay_alu instid0(VALU_DEP_4) | instskip(NEXT) | instid1(VALU_DEP_2)
	v_mov_b32_e32 v5, v12
	v_lshlrev_b64_e32 v[2:3], 4, v[2:3]
	s_delay_alu instid0(VALU_DEP_4) | instskip(NEXT) | instid1(VALU_DEP_3)
	v_add_co_u32 v0, s0, v19, v0
	v_mad_co_u64_u32 v[6:7], null, s11, v13, v[4:5]
	s_wait_alu 0xf1ff
	v_add_co_ci_u32_e64 v1, s0, v26, v1, s0
	s_delay_alu instid0(VALU_DEP_4) | instskip(SKIP_2) | instid1(VALU_DEP_4)
	v_add_co_u32 v2, s0, v19, v2
	s_wait_alu 0xf1ff
	v_add_co_ci_u32_e64 v3, s0, v26, v3, s0
	v_mad_co_u64_u32 v[12:13], null, s11, v14, v[5:6]
	v_mov_b32_e32 v9, v6
	s_clause 0x1
	global_load_b128 v[4:7], v[0:1], off
	global_load_b128 v[20:23], v[2:3], off
	v_mad_co_u64_u32 v[13:14], null, s10, v15, 0
	v_lshlrev_b64_e32 v[10:11], 4, v[11:12]
	s_delay_alu instid0(VALU_DEP_2) | instskip(NEXT) | instid1(VALU_DEP_1)
	v_mov_b32_e32 v2, v14
	v_mad_co_u64_u32 v[2:3], null, s11, v15, v[2:3]
	v_mad_co_u64_u32 v[15:16], null, s10, v18, 0
	s_delay_alu instid0(VALU_DEP_2) | instskip(SKIP_2) | instid1(VALU_DEP_2)
	v_mov_b32_e32 v14, v2
	v_lshlrev_b64_e32 v[0:1], 4, v[8:9]
	v_mad_co_u64_u32 v[8:9], null, s10, v17, 0
	v_add_co_u32 v0, s0, v19, v0
	s_wait_alu 0xf1ff
	s_delay_alu instid0(VALU_DEP_3) | instskip(NEXT) | instid1(VALU_DEP_3)
	v_add_co_ci_u32_e64 v1, s0, v26, v1, s0
	v_mov_b32_e32 v3, v9
	v_add_co_u32 v9, s0, v19, v10
	s_wait_alu 0xf1ff
	v_add_co_ci_u32_e64 v10, s0, v26, v11, s0
	v_mad_co_u64_u32 v[11:12], null, s10, v24, 0
	s_clause 0x1
	global_load_b128 v[36:39], v[0:1], off
	global_load_b128 v[32:35], v[9:10], off
	v_lshlrev_b64_e32 v[0:1], 4, v[13:14]
	s_delay_alu instid0(VALU_DEP_1) | instskip(SKIP_1) | instid1(VALU_DEP_2)
	v_add_co_u32 v0, s0, v19, v0
	s_wait_alu 0xf1ff
	v_add_co_ci_u32_e64 v1, s0, v26, v1, s0
	s_wait_loadcnt 0x3
	v_mad_co_u64_u32 v[2:3], null, s11, v17, v[3:4]
	v_mov_b32_e32 v3, v16
	s_delay_alu instid0(VALU_DEP_1) | instskip(NEXT) | instid1(VALU_DEP_3)
	v_mad_co_u64_u32 v[13:14], null, s11, v18, v[3:4]
	v_dual_mov_b32 v9, v2 :: v_dual_mov_b32 v2, v12
	s_delay_alu instid0(VALU_DEP_1) | instskip(NEXT) | instid1(VALU_DEP_3)
	v_mad_co_u64_u32 v[2:3], null, s11, v24, v[2:3]
	v_dual_mov_b32 v16, v13 :: v_dual_add_nc_u32 v3, 0x118, v147
	v_add_nc_u32_e32 v24, 0x15e, v147
	s_delay_alu instid0(VALU_DEP_2) | instskip(NEXT) | instid1(VALU_DEP_3)
	v_lshlrev_b64_e32 v[13:14], 4, v[15:16]
	v_mad_co_u64_u32 v[15:16], null, s10, v3, 0
	v_mov_b32_e32 v12, v2
	s_delay_alu instid0(VALU_DEP_2) | instskip(SKIP_1) | instid1(VALU_DEP_2)
	v_mov_b32_e32 v2, v16
	v_lshlrev_b64_e32 v[8:9], 4, v[8:9]
	v_mad_co_u64_u32 v[2:3], null, s11, v3, v[2:3]
	s_delay_alu instid0(VALU_DEP_2) | instskip(SKIP_1) | instid1(VALU_DEP_3)
	v_add_co_u32 v8, s0, v19, v8
	s_wait_alu 0xf1ff
	v_add_co_ci_u32_e64 v9, s0, v26, v9, s0
	s_clause 0x1
	global_load_b128 v[48:51], v[0:1], off
	global_load_b128 v[44:47], v[8:9], off
	v_add_co_u32 v0, s0, v19, v13
	v_lshlrev_b64_e32 v[8:9], 4, v[11:12]
	v_mad_co_u64_u32 v[12:13], null, s10, v24, 0
	s_wait_alu 0xf1ff
	v_add_co_ci_u32_e64 v1, s0, v26, v14, s0
	v_add_nc_u32_e32 v14, 0x13b, v147
	v_mov_b32_e32 v16, v2
	v_add_co_u32 v8, s0, v19, v8
	v_mov_b32_e32 v3, v13
	s_delay_alu instid0(VALU_DEP_4)
	v_mad_co_u64_u32 v[10:11], null, s10, v14, 0
	v_add_nc_u32_e32 v27, 0x181, v147
	s_wait_alu 0xf1ff
	v_add_co_ci_u32_e64 v9, s0, v26, v9, s0
	s_clause 0x1
	global_load_b128 v[60:63], v[0:1], off
	global_load_b128 v[40:43], v[8:9], off
	v_mov_b32_e32 v2, v11
	v_mad_co_u64_u32 v[17:18], null, s10, v27, 0
	v_lshlrev_b64_e32 v[8:9], 4, v[15:16]
	s_delay_alu instid0(VALU_DEP_3) | instskip(NEXT) | instid1(VALU_DEP_1)
	v_mad_co_u64_u32 v[13:14], null, s11, v14, v[2:3]
	v_mov_b32_e32 v11, v13
	v_mad_co_u64_u32 v[2:3], null, s11, v24, v[3:4]
	s_delay_alu instid0(VALU_DEP_1) | instskip(NEXT) | instid1(VALU_DEP_1)
	v_dual_mov_b32 v13, v2 :: v_dual_add_nc_u32 v28, 0x1a4, v147
	v_mad_co_u64_u32 v[24:25], null, s10, v28, 0
	v_mov_b32_e32 v0, v18
	v_add_co_u32 v2, s0, v19, v8
	s_wait_alu 0xf1ff
	v_add_co_ci_u32_e64 v3, s0, v26, v9, s0
	s_delay_alu instid0(VALU_DEP_3) | instskip(SKIP_2) | instid1(VALU_DEP_2)
	v_mad_co_u64_u32 v[0:1], null, s11, v27, v[0:1]
	v_mov_b32_e32 v1, v25
	v_lshlrev_b64_e32 v[8:9], 4, v[10:11]
	v_mad_co_u64_u32 v[10:11], null, s11, v28, v[1:2]
	v_lshlrev_b64_e32 v[11:12], 4, v[12:13]
	v_mov_b32_e32 v18, v0
	s_delay_alu instid0(VALU_DEP_4)
	v_add_co_u32 v0, s0, v19, v8
	s_wait_alu 0xf1ff
	v_add_co_ci_u32_e64 v1, s0, v26, v9, s0
	v_mov_b32_e32 v25, v10
	v_lshlrev_b64_e32 v[8:9], 4, v[17:18]
	v_add_co_u32 v10, s0, v19, v11
	s_wait_alu 0xf1ff
	v_add_co_ci_u32_e64 v11, s0, v26, v12, s0
	v_lshlrev_b64_e32 v[12:13], 4, v[24:25]
	s_delay_alu instid0(VALU_DEP_4) | instskip(SKIP_2) | instid1(VALU_DEP_3)
	v_add_co_u32 v8, s0, v19, v8
	s_wait_alu 0xf1ff
	v_add_co_ci_u32_e64 v9, s0, v26, v9, s0
	v_add_co_u32 v28, s0, v19, v12
	s_wait_alu 0xf1ff
	v_add_co_ci_u32_e64 v29, s0, v26, v13, s0
	s_clause 0x4
	global_load_b128 v[24:27], v[2:3], off
	global_load_b128 v[16:19], v[0:1], off
	;; [unrolled: 1-line block ×5, first 2 shown]
.LBB0_11:
	s_wait_alu 0xfffe
	s_or_b32 exec_lo, exec_lo, s2
	v_mov_b32_e32 v148, v147
.LBB0_12:
	s_wait_alu 0xfffe
	s_or_b32 exec_lo, exec_lo, s1
	s_wait_loadcnt 0x0
	v_add_f64_e64 v[75:76], v[22:23], -v[2:3]
	v_add_f64_e64 v[79:80], v[20:21], -v[0:1]
	s_mov_b32 s6, 0x2ef20147
	s_mov_b32 s2, 0x24c2f84
	;; [unrolled: 1-line block ×6, first 2 shown]
	v_add_f64_e32 v[81:82], v[0:1], v[20:21]
	v_add_f64_e64 v[77:78], v[38:39], -v[10:11]
	v_add_f64_e64 v[89:90], v[36:37], -v[8:9]
	v_add_f64_e32 v[83:84], v[2:3], v[22:23]
	s_mov_b32 s26, 0xb2365da1
	s_mov_b32 s16, 0xd0032e0c
	;; [unrolled: 1-line block ×8, first 2 shown]
	s_wait_alu 0xfffe
	s_mov_b32 s14, s2
	s_mov_b32 s23, 0x3fefc445
	;; [unrolled: 1-line block ×4, first 2 shown]
	v_add_f64_e32 v[141:142], v[8:9], v[36:37]
	v_add_f64_e64 v[97:98], v[34:35], -v[14:15]
	v_add_f64_e64 v[137:138], v[32:33], -v[12:13]
	v_add_f64_e32 v[123:124], v[10:11], v[38:39]
	s_mov_b32 s24, 0xe00740e9
	s_mov_b32 s28, 0xebaa3ed8
	s_mov_b32 s30, 0x42a4c3d2
	s_mov_b32 s25, 0x3fec55a7
	s_mov_b32 s29, 0x3fbedb7d
	s_mov_b32 s31, 0xbfea55e2
	v_add_f64_e32 v[145:146], v[12:13], v[32:33]
	v_add_f64_e32 v[119:120], v[14:15], v[34:35]
	v_add_f64_e64 v[93:94], v[50:51], -v[18:19]
	v_add_f64_e64 v[135:136], v[48:49], -v[16:17]
	v_mul_f64_e32 v[85:86], s[6:7], v[75:76]
	v_mul_f64_e32 v[87:88], s[6:7], v[79:80]
	v_mul_f64_e32 v[28:29], s[2:3], v[75:76]
	v_mul_f64_e32 v[30:31], s[2:3], v[79:80]
	v_mul_f64_e32 v[52:53], s[12:13], v[75:76]
	v_mul_f64_e32 v[54:55], s[12:13], v[79:80]
	s_mov_b32 s38, 0x1ea71119
	s_mov_b32 s37, 0xbfefc445
	;; [unrolled: 1-line block ×3, first 2 shown]
	v_mul_f64_e32 v[131:132], s[14:15], v[77:78]
	v_mul_f64_e32 v[133:134], s[14:15], v[89:90]
	s_wait_alu 0xfffe
	v_mul_f64_e32 v[58:59], s[22:23], v[77:78]
	v_mul_f64_e32 v[66:67], s[22:23], v[89:90]
	;; [unrolled: 1-line block ×4, first 2 shown]
	s_mov_b32 s39, 0x3fe22d96
	s_mov_b32 s41, 0x3fea55e2
	;; [unrolled: 1-line block ×5, first 2 shown]
	v_add_f64_e32 v[143:144], v[16:17], v[48:49]
	v_add_f64_e64 v[127:128], v[44:45], -v[24:25]
	s_mov_b32 s33, exec_lo
	v_mul_f64_e32 v[125:126], s[18:19], v[97:98]
	v_mul_f64_e32 v[129:130], s[18:19], v[137:138]
	;; [unrolled: 1-line block ×8, first 2 shown]
	v_fma_f64 v[56:57], v[81:82], s[26:27], -v[85:86]
	v_fma_f64 v[64:65], v[83:84], s[26:27], v[87:88]
	v_fma_f64 v[68:69], v[81:82], s[16:17], v[28:29]
	v_fma_f64 v[91:92], v[83:84], s[16:17], -v[30:31]
	v_fma_f64 v[28:29], v[81:82], s[16:17], -v[28:29]
	v_fma_f64 v[30:31], v[83:84], s[16:17], v[30:31]
	v_fma_f64 v[99:100], v[81:82], s[20:21], v[52:53]
	v_fma_f64 v[101:102], v[83:84], s[20:21], -v[54:55]
	v_fma_f64 v[52:53], v[81:82], s[20:21], -v[52:53]
	v_fma_f64 v[54:55], v[83:84], s[20:21], v[54:55]
	v_fma_f64 v[111:112], v[141:142], s[16:17], -v[131:132]
	v_fma_f64 v[113:114], v[123:124], s[16:17], v[133:134]
	v_fma_f64 v[115:116], v[141:142], s[28:29], v[58:59]
	v_fma_f64 v[139:140], v[123:124], s[28:29], -v[66:67]
	v_fma_f64 v[58:59], v[141:142], s[28:29], -v[58:59]
	v_fma_f64 v[66:67], v[123:124], s[28:29], v[66:67]
	v_fma_f64 v[149:150], v[141:142], s[24:25], v[70:71]
	v_fma_f64 v[153:154], v[123:124], s[24:25], -v[95:96]
	v_fma_f64 v[70:71], v[141:142], s[24:25], -v[70:71]
	v_fma_f64 v[95:96], v[123:124], s[24:25], v[95:96]
	v_mul_f64_e32 v[157:158], s[34:35], v[93:94]
	v_mul_f64_e32 v[159:160], s[34:35], v[135:136]
	;; [unrolled: 1-line block ×4, first 2 shown]
	v_fma_f64 v[165:166], v[145:146], s[24:25], -v[125:126]
	v_fma_f64 v[167:168], v[119:120], s[24:25], v[129:130]
	v_fma_f64 v[169:170], v[119:120], s[38:39], v[105:106]
	v_fma_f64 v[173:174], v[145:146], s[16:17], -v[107:108]
	v_fma_f64 v[171:172], v[119:120], s[16:17], -v[109:110]
	v_fma_f64 v[175:176], v[119:120], s[16:17], v[109:110]
	v_add_f64_e64 v[109:110], v[60:61], -v[40:41]
	v_fma_f64 v[177:178], v[143:144], s[28:29], -v[117:118]
	v_add_f64_e32 v[56:57], v[4:5], v[56:57]
	v_add_f64_e32 v[64:65], v[6:7], v[64:65]
	;; [unrolled: 1-line block ×11, first 2 shown]
	v_add_f64_e64 v[91:92], v[46:47], -v[26:27]
	v_fma_f64 v[181:182], v[143:144], s[38:39], v[161:162]
	v_fma_f64 v[161:162], v[143:144], s[38:39], -v[161:162]
	v_add_f64_e32 v[56:57], v[111:112], v[56:57]
	v_fma_f64 v[111:112], v[145:146], s[38:39], v[103:104]
	v_add_f64_e32 v[64:65], v[113:114], v[64:65]
	v_fma_f64 v[113:114], v[119:120], s[38:39], -v[105:106]
	v_fma_f64 v[103:104], v[145:146], s[38:39], -v[103:104]
	v_add_f64_e32 v[68:69], v[115:116], v[68:69]
	v_fma_f64 v[115:116], v[145:146], s[16:17], v[107:108]
	v_add_f64_e32 v[151:152], v[139:140], v[151:152]
	v_add_f64_e32 v[28:29], v[58:59], v[28:29]
	;; [unrolled: 1-line block ×9, first 2 shown]
	v_add_f64_e64 v[95:96], v[62:63], -v[42:43]
	v_mul_f64_e32 v[105:106], s[34:35], v[91:92]
	v_mul_f64_e32 v[107:108], s[34:35], v[127:128]
	;; [unrolled: 1-line block ×6, first 2 shown]
	v_fma_f64 v[179:180], v[101:102], s[28:29], v[121:122]
	v_fma_f64 v[183:184], v[101:102], s[38:39], -v[163:164]
	v_fma_f64 v[163:164], v[101:102], s[38:39], v[163:164]
	v_add_f64_e32 v[56:57], v[165:166], v[56:57]
	v_fma_f64 v[165:166], v[143:144], s[20:21], v[157:158]
	v_add_f64_e32 v[64:65], v[167:168], v[64:65]
	v_fma_f64 v[167:168], v[101:102], s[20:21], -v[159:160]
	v_fma_f64 v[157:158], v[143:144], s[20:21], -v[157:158]
	v_fma_f64 v[159:160], v[101:102], s[20:21], v[159:160]
	v_add_f64_e32 v[68:69], v[111:112], v[68:69]
	v_add_f64_e32 v[151:152], v[113:114], v[151:152]
	;; [unrolled: 1-line block ×10, first 2 shown]
	v_mul_f64_e32 v[111:112], s[40:41], v[95:96]
	v_mul_f64_e32 v[113:114], s[40:41], v[109:110]
	;; [unrolled: 1-line block ×6, first 2 shown]
	v_fma_f64 v[185:186], v[139:140], s[20:21], -v[105:106]
	v_fma_f64 v[187:188], v[99:100], s[20:21], v[107:108]
	v_add_f64_e32 v[56:57], v[177:178], v[56:57]
	v_fma_f64 v[177:178], v[139:140], s[24:25], v[70:71]
	v_add_f64_e32 v[64:65], v[179:180], v[64:65]
	v_fma_f64 v[179:180], v[99:100], s[24:25], -v[149:150]
	v_fma_f64 v[70:71], v[139:140], s[24:25], -v[70:71]
	v_fma_f64 v[149:150], v[99:100], s[24:25], v[149:150]
	v_add_f64_e32 v[68:69], v[165:166], v[68:69]
	v_fma_f64 v[165:166], v[139:140], s[26:27], v[153:154]
	v_add_f64_e32 v[151:152], v[167:168], v[151:152]
	v_fma_f64 v[167:168], v[99:100], s[26:27], -v[155:156]
	v_fma_f64 v[153:154], v[139:140], s[26:27], -v[153:154]
	v_fma_f64 v[155:156], v[99:100], s[26:27], v[155:156]
	v_add_f64_e32 v[28:29], v[157:158], v[28:29]
	v_add_f64_e32 v[30:31], v[159:160], v[30:31]
	;; [unrolled: 1-line block ×6, first 2 shown]
	v_fma_f64 v[157:158], v[115:116], s[38:39], -v[111:112]
	v_fma_f64 v[159:160], v[103:104], s[38:39], v[113:114]
	v_fma_f64 v[161:162], v[115:116], s[26:27], v[169:170]
	v_fma_f64 v[163:164], v[103:104], s[26:27], -v[171:172]
	v_fma_f64 v[169:170], v[115:116], s[26:27], -v[169:170]
	v_fma_f64 v[171:172], v[103:104], s[26:27], v[171:172]
	v_fma_f64 v[181:182], v[115:116], s[28:29], v[173:174]
	v_fma_f64 v[183:184], v[103:104], s[28:29], -v[175:176]
	v_fma_f64 v[173:174], v[115:116], s[28:29], -v[173:174]
	v_fma_f64 v[175:176], v[103:104], s[28:29], v[175:176]
	v_add_f64_e32 v[56:57], v[185:186], v[56:57]
	v_add_f64_e32 v[64:65], v[187:188], v[64:65]
	;; [unrolled: 1-line block ×20, first 2 shown]
	v_mul_hi_u32 v149, 0xaaaaaaab, v74
	s_delay_alu instid0(VALU_DEP_1) | instskip(NEXT) | instid1(VALU_DEP_1)
	v_lshrrev_b32_e32 v149, 1, v149
	v_lshl_add_u32 v149, v149, 1, v149
	s_delay_alu instid0(VALU_DEP_1) | instskip(NEXT) | instid1(VALU_DEP_1)
	v_sub_nc_u32_e32 v74, v74, v149
	v_mul_u32_u24_e32 v74, 0x1c7, v74
	s_delay_alu instid0(VALU_DEP_1)
	v_lshlrev_b32_e32 v74, 4, v74
	v_cmpx_gt_u32_e32 35, v147
	s_cbranch_execz .LBB0_14
; %bb.13:
	v_add_f64_e32 v[22:23], v[22:23], v[6:7]
	v_add_f64_e32 v[20:21], v[20:21], v[4:5]
	s_mov_b32 s1, 0xbfddbe06
	s_mov_b32 s0, s18
	v_mul_f64_e32 v[149:150], s[12:13], v[89:90]
	v_mul_f64_e32 v[151:152], s[20:21], v[141:142]
	;; [unrolled: 1-line block ×5, first 2 shown]
	s_mov_b32 s43, 0x3fedeba7
	s_mov_b32 s42, s6
	v_mul_f64_e32 v[157:158], s[24:25], v[145:146]
	v_mul_f64_e32 v[159:160], s[24:25], v[119:120]
	;; [unrolled: 1-line block ×3, first 2 shown]
	v_add_f64_e32 v[22:23], v[38:39], v[22:23]
	v_add_f64_e32 v[20:21], v[36:37], v[20:21]
	v_mul_f64_e32 v[36:37], s[36:37], v[79:80]
	v_mul_f64_e32 v[38:39], s[28:29], v[81:82]
	v_fma_f64 v[169:170], v[123:124], s[26:27], v[153:154]
	v_fma_f64 v[171:172], v[77:78], s[42:43], v[155:156]
	v_fma_f64 v[153:154], v[123:124], s[26:27], -v[153:154]
	v_fma_f64 v[155:156], v[77:78], s[6:7], v[155:156]
	v_fma_f64 v[173:174], v[123:124], s[38:39], v[89:90]
	v_fma_f64 v[89:90], v[123:124], s[38:39], -v[89:90]
	v_add_f64_e64 v[129:130], v[159:160], -v[129:130]
	v_add_f64_e32 v[125:126], v[125:126], v[157:158]
	v_fma_f64 v[179:180], v[119:120], s[28:29], v[167:168]
	v_fma_f64 v[167:168], v[119:120], s[28:29], -v[167:168]
	v_add_f64_e32 v[22:23], v[34:35], v[22:23]
	v_add_f64_e32 v[20:21], v[32:33], v[20:21]
	v_mul_f64_e32 v[32:33], s[26:27], v[83:84]
	v_mul_f64_e32 v[34:35], s[26:27], v[81:82]
	s_delay_alu instid0(VALU_DEP_4) | instskip(NEXT) | instid1(VALU_DEP_4)
	v_add_f64_e32 v[22:23], v[50:51], v[22:23]
	v_add_f64_e32 v[20:21], v[48:49], v[20:21]
	v_mul_f64_e32 v[48:49], s[30:31], v[79:80]
	v_mul_f64_e32 v[50:51], s[38:39], v[81:82]
	;; [unrolled: 1-line block ×3, first 2 shown]
	v_add_f64_e64 v[32:33], v[32:33], -v[87:88]
	v_add_f64_e32 v[34:35], v[85:86], v[34:35]
	v_fma_f64 v[85:86], v[83:84], s[28:29], v[36:37]
	v_fma_f64 v[87:88], v[75:76], s[22:23], v[38:39]
	v_fma_f64 v[36:37], v[83:84], s[28:29], -v[36:37]
	v_fma_f64 v[38:39], v[75:76], s[36:37], v[38:39]
	v_add_f64_e32 v[22:23], v[46:47], v[22:23]
	v_add_f64_e32 v[20:21], v[44:45], v[20:21]
	s_wait_alu 0xfffe
	v_mul_f64_e32 v[44:45], s[0:1], v[79:80]
	v_mul_f64_e32 v[46:47], s[16:17], v[123:124]
	v_mul_f64_e32 v[79:80], s[16:17], v[141:142]
	v_mul_f64_e32 v[141:142], s[38:39], v[141:142]
	v_fma_f64 v[161:162], v[83:84], s[38:39], -v[48:49]
	v_fma_f64 v[163:164], v[75:76], s[30:31], v[50:51]
	v_fma_f64 v[48:49], v[83:84], s[38:39], v[48:49]
	;; [unrolled: 1-line block ×5, first 2 shown]
	v_mul_f64_e32 v[81:82], s[12:13], v[137:138]
	v_mul_f64_e32 v[137:138], s[42:43], v[137:138]
	v_add_f64_e32 v[32:33], v[6:7], v[32:33]
	v_add_f64_e32 v[34:35], v[4:5], v[34:35]
	;; [unrolled: 1-line block ×8, first 2 shown]
	v_fma_f64 v[60:61], v[83:84], s[24:25], -v[44:45]
	v_fma_f64 v[44:45], v[83:84], s[24:25], v[44:45]
	v_mul_f64_e32 v[62:63], s[26:27], v[145:146]
	v_mul_f64_e32 v[83:84], s[20:21], v[145:146]
	;; [unrolled: 1-line block ×3, first 2 shown]
	v_add_f64_e64 v[46:47], v[46:47], -v[133:134]
	v_add_f64_e32 v[79:80], v[131:132], v[79:80]
	v_fma_f64 v[131:132], v[123:124], s[20:21], v[149:150]
	v_fma_f64 v[133:134], v[77:78], s[34:35], v[151:152]
	v_fma_f64 v[149:150], v[123:124], s[20:21], -v[149:150]
	v_fma_f64 v[151:152], v[77:78], s[12:13], v[151:152]
	v_fma_f64 v[175:176], v[77:78], s[40:41], v[141:142]
	;; [unrolled: 1-line block ×3, first 2 shown]
	v_add_f64_e32 v[123:124], v[6:7], v[161:162]
	v_add_f64_e32 v[141:142], v[4:5], v[163:164]
	;; [unrolled: 1-line block ×6, first 2 shown]
	v_mul_f64_e32 v[75:76], s[24:25], v[143:144]
	v_mul_f64_e32 v[163:164], s[14:15], v[135:136]
	;; [unrolled: 1-line block ×3, first 2 shown]
	v_fma_f64 v[159:160], v[119:120], s[20:21], v[81:82]
	v_fma_f64 v[81:82], v[119:120], s[20:21], -v[81:82]
	v_add_f64_e32 v[22:23], v[42:43], v[22:23]
	v_add_f64_e32 v[20:21], v[40:41], v[20:21]
	;; [unrolled: 1-line block ×4, first 2 shown]
	v_mul_f64_e32 v[42:43], s[28:29], v[143:144]
	v_mul_f64_e32 v[44:45], s[28:29], v[101:102]
	;; [unrolled: 1-line block ×3, first 2 shown]
	v_fma_f64 v[157:158], v[97:98], s[6:7], v[62:63]
	v_fma_f64 v[62:63], v[97:98], s[42:43], v[62:63]
	;; [unrolled: 1-line block ×7, first 2 shown]
	v_fma_f64 v[119:120], v[119:120], s[26:27], -v[137:138]
	v_add_f64_e32 v[32:33], v[46:47], v[32:33]
	v_add_f64_e32 v[34:35], v[79:80], v[34:35]
	;; [unrolled: 1-line block ×10, first 2 shown]
	v_mul_f64_e32 v[143:144], s[26:27], v[143:144]
	v_add_f64_e32 v[123:124], v[175:176], v[161:162]
	v_mul_f64_e32 v[135:136], s[6:7], v[135:136]
	v_add_f64_e32 v[4:5], v[77:78], v[4:5]
	v_mul_f64_e32 v[77:78], s[30:31], v[127:128]
	v_mul_f64_e32 v[131:132], s[22:23], v[127:128]
	;; [unrolled: 1-line block ×3, first 2 shown]
	v_fma_f64 v[149:150], v[101:102], s[16:17], -v[163:164]
	v_fma_f64 v[151:152], v[93:94], s[14:15], v[165:166]
	v_mul_f64_e32 v[137:138], s[16:17], v[139:140]
	v_fma_f64 v[141:142], v[93:94], s[2:3], v[165:166]
	v_mul_f64_e32 v[127:128], s[2:3], v[127:128]
	v_add_f64_e32 v[22:23], v[26:27], v[22:23]
	v_add_f64_e32 v[20:21], v[24:25], v[20:21]
	;; [unrolled: 1-line block ×4, first 2 shown]
	v_mul_f64_e32 v[26:27], s[20:21], v[139:140]
	v_mul_f64_e32 v[40:41], s[20:21], v[99:100]
	;; [unrolled: 1-line block ×3, first 2 shown]
	v_add_f64_e64 v[44:45], v[44:45], -v[121:122]
	v_add_f64_e32 v[42:43], v[117:118], v[42:43]
	v_fma_f64 v[117:118], v[101:102], s[24:25], v[60:61]
	v_fma_f64 v[121:122], v[93:94], s[0:1], v[75:76]
	v_fma_f64 v[60:61], v[101:102], s[24:25], -v[60:61]
	v_fma_f64 v[75:76], v[93:94], s[18:19], v[75:76]
	v_fma_f64 v[139:140], v[101:102], s[16:17], v[163:164]
	v_add_f64_e32 v[32:33], v[129:130], v[32:33]
	v_add_f64_e32 v[34:35], v[125:126], v[34:35]
	;; [unrolled: 1-line block ×10, first 2 shown]
	v_fma_f64 v[155:156], v[93:94], s[42:43], v[143:144]
	v_add_f64_e32 v[83:84], v[181:182], v[123:124]
	v_fma_f64 v[153:154], v[101:102], s[26:27], v[135:136]
	v_fma_f64 v[101:102], v[101:102], s[26:27], -v[135:136]
	v_fma_f64 v[93:94], v[93:94], s[6:7], v[143:144]
	v_add_f64_e32 v[4:5], v[97:98], v[4:5]
	v_mul_f64_e32 v[85:86], s[2:3], v[109:110]
	v_mul_f64_e32 v[87:88], s[16:17], v[115:116]
	v_mul_f64_e32 v[97:98], s[18:19], v[109:110]
	v_mul_f64_e32 v[119:120], s[24:25], v[115:116]
	v_fma_f64 v[123:124], v[99:100], s[28:29], v[131:132]
	v_fma_f64 v[129:130], v[99:100], s[28:29], -v[131:132]
	v_fma_f64 v[131:132], v[91:92], s[22:23], v[133:134]
	v_add_f64_e32 v[18:19], v[18:19], v[22:23]
	v_add_f64_e32 v[16:17], v[16:17], v[20:21]
	;; [unrolled: 1-line block ×4, first 2 shown]
	v_mul_f64_e32 v[22:23], s[38:39], v[115:116]
	v_mul_f64_e32 v[24:25], s[38:39], v[103:104]
	v_add_f64_e64 v[40:41], v[40:41], -v[107:108]
	v_add_f64_e32 v[26:27], v[105:106], v[26:27]
	v_fma_f64 v[105:106], v[99:100], s[38:39], v[77:78]
	v_fma_f64 v[107:108], v[91:92], s[40:41], v[89:90]
	v_fma_f64 v[77:78], v[99:100], s[38:39], -v[77:78]
	v_fma_f64 v[89:90], v[91:92], s[30:31], v[89:90]
	v_fma_f64 v[125:126], v[91:92], s[36:37], v[133:134]
	;; [unrolled: 1-line block ×3, first 2 shown]
	v_mul_f64_e32 v[109:110], s[12:13], v[109:110]
	v_add_f64_e32 v[32:33], v[44:45], v[32:33]
	v_add_f64_e32 v[34:35], v[42:43], v[34:35]
	;; [unrolled: 1-line block ×10, first 2 shown]
	v_mul_f64_e32 v[115:116], s[20:21], v[115:116]
	v_add_f64_e32 v[62:63], v[155:156], v[83:84]
	v_fma_f64 v[133:134], v[99:100], s[16:17], v[127:128]
	v_fma_f64 v[99:100], v[99:100], s[16:17], -v[127:128]
	v_fma_f64 v[91:92], v[91:92], s[2:3], v[137:138]
	v_add_f64_e32 v[4:5], v[93:94], v[4:5]
	v_fma_f64 v[75:76], v[103:104], s[16:17], -v[85:86]
	v_fma_f64 v[79:80], v[95:96], s[2:3], v[87:88]
	v_fma_f64 v[81:82], v[103:104], s[24:25], v[97:98]
	;; [unrolled: 1-line block ×3, first 2 shown]
	v_add_f64_e32 v[14:15], v[14:15], v[18:19]
	v_add_f64_e32 v[12:13], v[12:13], v[16:17]
	;; [unrolled: 1-line block ×5, first 2 shown]
	v_add_f64_e64 v[18:19], v[24:25], -v[113:114]
	v_fma_f64 v[22:23], v[103:104], s[16:17], v[85:86]
	v_fma_f64 v[24:25], v[95:96], s[14:15], v[87:88]
	v_fma_f64 v[85:86], v[103:104], s[24:25], -v[97:98]
	v_fma_f64 v[87:88], v[95:96], s[18:19], v[119:120]
	v_fma_f64 v[101:102], v[103:104], s[20:21], -v[109:110]
	v_add_f64_e32 v[32:33], v[40:41], v[32:33]
	v_add_f64_e32 v[26:27], v[26:27], v[34:35]
	;; [unrolled: 1-line block ×10, first 2 shown]
	v_fma_f64 v[97:98], v[95:96], s[34:35], v[115:116]
	v_add_f64_e32 v[50:51], v[135:136], v[62:63]
	v_fma_f64 v[95:96], v[95:96], s[12:13], v[115:116]
	v_fma_f64 v[93:94], v[103:104], s[20:21], v[109:110]
	v_add_f64_e32 v[60:61], v[91:92], v[4:5]
	v_add_f64_e32 v[62:63], v[10:11], v[14:15]
	;; [unrolled: 1-line block ×15, first 2 shown]
	v_mul_u32_u24_e32 v36, 0xd0, v147
	v_add_f64_e32 v[24:25], v[97:98], v[50:51]
	v_add_f64_e32 v[32:33], v[95:96], v[60:61]
	s_delay_alu instid0(VALU_DEP_3)
	v_add3_u32 v36, 0, v36, v74
	v_add_f64_e32 v[2:3], v[2:3], v[62:63]
	v_add_f64_e32 v[0:1], v[0:1], v[77:78]
	;; [unrolled: 1-line block ×4, first 2 shown]
	ds_store_b128 v36, v[52:55] offset:96
	ds_store_b128 v36, v[56:59] offset:112
	;; [unrolled: 1-line block ×10, first 2 shown]
	ds_store_b128 v36, v[0:3]
	ds_store_b128 v36, v[32:35] offset:16
	ds_store_b128 v36, v[24:27] offset:192
.LBB0_14:
	s_or_b32 exec_lo, exec_lo, s33
	v_lshlrev_b32_e32 v0, 4, v147
	global_wb scope:SCOPE_SE
	s_wait_dscnt 0x0
	s_barrier_signal -1
	s_barrier_wait -1
	global_inv scope:SCOPE_SE
	v_add3_u32 v21, 0, v74, v0
	v_add3_u32 v20, 0, v0, v74
	v_cmp_gt_u32_e64 s0, 26, v147
	ds_load_b128 v[0:3], v21
	ds_load_b128 v[16:19], v20 offset:1456
	ds_load_b128 v[4:7], v20 offset:2912
	ds_load_b128 v[8:11], v20 offset:4368
	ds_load_b128 v[12:15], v20 offset:5824
	s_and_saveexec_b32 s1, s0
	s_cbranch_execz .LBB0_16
; %bb.15:
	ds_load_b128 v[28:31], v20 offset:1040
	ds_load_b128 v[52:55], v20 offset:2496
	;; [unrolled: 1-line block ×5, first 2 shown]
.LBB0_16:
	s_wait_alu 0xfffe
	s_or_b32 exec_lo, exec_lo, s1
	v_and_b32_e32 v22, 0xff, v147
	s_mov_b32 s2, 0x134454ff
	s_mov_b32 s3, 0xbfee6f0e
	;; [unrolled: 1-line block ×3, first 2 shown]
	s_wait_alu 0xfffe
	s_mov_b32 s6, s2
	v_mul_lo_u16 v22, 0x4f, v22
	s_mov_b32 s14, 0x4755a5e
	s_mov_b32 s15, 0xbfe2cf23
	;; [unrolled: 1-line block ×3, first 2 shown]
	s_wait_alu 0xfffe
	s_mov_b32 s12, s14
	v_lshrrev_b16 v77, 10, v22
	s_mov_b32 s16, 0x372fe950
	s_mov_b32 s17, 0x3fd3c6ef
	s_delay_alu instid0(VALU_DEP_1) | instskip(NEXT) | instid1(VALU_DEP_1)
	v_mul_lo_u16 v22, v77, 13
	v_sub_nc_u16 v22, v147, v22
	s_delay_alu instid0(VALU_DEP_1) | instskip(NEXT) | instid1(VALU_DEP_1)
	v_and_b32_e32 v78, 0xff, v22
	v_lshlrev_b32_e32 v26, 6, v78
	s_clause 0x3
	global_load_b128 v[22:25], v26, s[4:5]
	global_load_b128 v[32:35], v26, s[4:5] offset:16
	global_load_b128 v[36:39], v26, s[4:5] offset:32
	;; [unrolled: 1-line block ×3, first 2 shown]
	global_wb scope:SCOPE_SE
	s_wait_loadcnt_dscnt 0x0
	s_barrier_signal -1
	s_barrier_wait -1
	global_inv scope:SCOPE_SE
	v_mul_f64_e32 v[26:27], v[18:19], v[24:25]
	v_mul_f64_e32 v[44:45], v[6:7], v[34:35]
	;; [unrolled: 1-line block ×8, first 2 shown]
	v_fma_f64 v[16:17], v[16:17], v[22:23], v[26:27]
	v_fma_f64 v[4:5], v[4:5], v[32:33], v[44:45]
	v_fma_f64 v[8:9], v[8:9], v[36:37], v[46:47]
	v_fma_f64 v[12:13], v[12:13], v[40:41], v[48:49]
	v_fma_f64 v[6:7], v[6:7], v[32:33], -v[34:35]
	v_fma_f64 v[10:11], v[10:11], v[36:37], -v[38:39]
	;; [unrolled: 1-line block ×4, first 2 shown]
	v_add_f64_e32 v[34:35], v[0:1], v[16:17]
	v_add_f64_e32 v[22:23], v[4:5], v[8:9]
	;; [unrolled: 1-line block ×3, first 2 shown]
	v_add_f64_e64 v[42:43], v[16:17], -v[12:13]
	v_add_f64_e32 v[26:27], v[6:7], v[10:11]
	v_add_f64_e32 v[40:41], v[2:3], v[18:19]
	;; [unrolled: 1-line block ×3, first 2 shown]
	v_add_f64_e64 v[36:37], v[18:19], -v[14:15]
	v_add_f64_e64 v[38:39], v[6:7], -v[10:11]
	;; [unrolled: 1-line block ×8, first 2 shown]
	v_fma_f64 v[22:23], v[22:23], -0.5, v[0:1]
	v_fma_f64 v[0:1], v[24:25], -0.5, v[0:1]
	v_add_f64_e64 v[24:25], v[4:5], -v[8:9]
	v_fma_f64 v[26:27], v[26:27], -0.5, v[2:3]
	v_add_f64_e32 v[6:7], v[40:41], v[6:7]
	v_fma_f64 v[2:3], v[32:33], -0.5, v[2:3]
	v_add_f64_e64 v[32:33], v[16:17], -v[4:5]
	v_add_f64_e64 v[16:17], v[4:5], -v[16:17]
	v_add_f64_e32 v[4:5], v[34:35], v[4:5]
	v_add_f64_e32 v[18:19], v[18:19], v[60:61]
	v_fma_f64 v[34:35], v[36:37], s[2:3], v[22:23]
	v_fma_f64 v[22:23], v[36:37], s[6:7], v[22:23]
	;; [unrolled: 1-line block ×8, first 2 shown]
	v_add_f64_e32 v[4:5], v[4:5], v[8:9]
	v_add_f64_e32 v[6:7], v[6:7], v[10:11]
	;; [unrolled: 1-line block ×5, first 2 shown]
	v_fma_f64 v[8:9], v[38:39], s[14:15], v[34:35]
	s_wait_alu 0xfffe
	v_fma_f64 v[10:11], v[38:39], s[12:13], v[22:23]
	v_fma_f64 v[22:23], v[36:37], s[14:15], v[40:41]
	;; [unrolled: 1-line block ×7, first 2 shown]
	v_add_f64_e32 v[0:1], v[4:5], v[12:13]
	v_add_f64_e32 v[2:3], v[6:7], v[14:15]
	v_fma_f64 v[4:5], v[32:33], s[16:17], v[8:9]
	v_fma_f64 v[8:9], v[32:33], s[16:17], v[10:11]
	;; [unrolled: 1-line block ×8, first 2 shown]
	v_and_b32_e32 v22, 0xffff, v77
	v_lshlrev_b32_e32 v23, 4, v78
	s_delay_alu instid0(VALU_DEP_2) | instskip(NEXT) | instid1(VALU_DEP_1)
	v_mad_u32_u24 v22, 0x410, v22, 0
	v_add3_u32 v22, v22, v23, v74
	ds_store_b128 v22, v[0:3]
	ds_store_b128 v22, v[4:7] offset:208
	ds_store_b128 v22, v[12:15] offset:416
	;; [unrolled: 1-line block ×4, first 2 shown]
	s_and_saveexec_b32 s1, s0
	s_cbranch_execz .LBB0_18
; %bb.17:
	v_add_nc_u16 v0, v147, 0x41
	s_delay_alu instid0(VALU_DEP_1) | instskip(NEXT) | instid1(VALU_DEP_1)
	v_and_b32_e32 v1, 0xff, v0
	v_mul_lo_u16 v1, 0x4f, v1
	s_delay_alu instid0(VALU_DEP_1) | instskip(NEXT) | instid1(VALU_DEP_1)
	v_lshrrev_b16 v60, 10, v1
	v_mul_lo_u16 v1, v60, 13
	s_delay_alu instid0(VALU_DEP_1) | instskip(NEXT) | instid1(VALU_DEP_1)
	v_sub_nc_u16 v0, v0, v1
	v_and_b32_e32 v61, 0xff, v0
	s_delay_alu instid0(VALU_DEP_1)
	v_lshlrev_b32_e32 v12, 6, v61
	s_clause 0x3
	global_load_b128 v[0:3], v12, s[4:5] offset:16
	global_load_b128 v[4:7], v12, s[4:5]
	global_load_b128 v[8:11], v12, s[4:5] offset:48
	global_load_b128 v[12:15], v12, s[4:5] offset:32
	s_wait_loadcnt 0x3
	v_mul_f64_e32 v[16:17], v[56:57], v[2:3]
	s_wait_loadcnt 0x2
	v_mul_f64_e32 v[18:19], v[52:53], v[6:7]
	;; [unrolled: 2-line block ×4, first 2 shown]
	v_mul_f64_e32 v[2:3], v[58:59], v[2:3]
	v_mul_f64_e32 v[14:15], v[66:67], v[14:15]
	;; [unrolled: 1-line block ×4, first 2 shown]
	v_fma_f64 v[16:17], v[58:59], v[0:1], -v[16:17]
	v_fma_f64 v[18:19], v[54:55], v[4:5], -v[18:19]
	v_fma_f64 v[22:23], v[70:71], v[8:9], -v[22:23]
	v_fma_f64 v[24:25], v[66:67], v[12:13], -v[24:25]
	v_fma_f64 v[0:1], v[56:57], v[0:1], v[2:3]
	v_fma_f64 v[2:3], v[64:65], v[12:13], v[14:15]
	;; [unrolled: 1-line block ×4, first 2 shown]
	v_add_f64_e32 v[34:35], v[30:31], v[18:19]
	v_add_f64_e32 v[8:9], v[18:19], v[22:23]
	;; [unrolled: 1-line block ×3, first 2 shown]
	v_add_f64_e64 v[38:39], v[18:19], -v[22:23]
	v_add_f64_e32 v[12:13], v[0:1], v[2:3]
	v_add_f64_e32 v[36:37], v[28:29], v[4:5]
	;; [unrolled: 1-line block ×3, first 2 shown]
	v_add_f64_e64 v[26:27], v[0:1], -v[2:3]
	v_add_f64_e64 v[32:33], v[4:5], -v[6:7]
	v_add_f64_e64 v[42:43], v[22:23], -v[24:25]
	v_add_f64_e64 v[44:45], v[0:1], -v[4:5]
	v_add_f64_e64 v[4:5], v[4:5], -v[0:1]
	v_add_f64_e64 v[48:49], v[6:7], -v[2:3]
	v_add_f64_e64 v[40:41], v[24:25], -v[22:23]
	v_add_f64_e64 v[46:47], v[2:3], -v[6:7]
	v_fma_f64 v[8:9], v[8:9], -0.5, v[30:31]
	v_fma_f64 v[10:11], v[10:11], -0.5, v[30:31]
	v_add_f64_e64 v[30:31], v[16:17], -v[24:25]
	v_fma_f64 v[12:13], v[12:13], -0.5, v[28:29]
	v_add_f64_e32 v[0:1], v[36:37], v[0:1]
	v_fma_f64 v[14:15], v[14:15], -0.5, v[28:29]
	v_add_f64_e64 v[28:29], v[16:17], -v[18:19]
	v_add_f64_e64 v[18:19], v[18:19], -v[16:17]
	v_add_f64_e32 v[16:17], v[34:35], v[16:17]
	v_fma_f64 v[34:35], v[26:27], s[6:7], v[8:9]
	v_fma_f64 v[8:9], v[26:27], s[2:3], v[8:9]
	;; [unrolled: 1-line block ×8, first 2 shown]
	v_add_f64_e32 v[18:19], v[18:19], v[42:43]
	v_add_f64_e32 v[42:43], v[4:5], v[48:49]
	;; [unrolled: 1-line block ×6, first 2 shown]
	v_fma_f64 v[16:17], v[32:33], s[14:15], v[34:35]
	v_fma_f64 v[8:9], v[32:33], s[12:13], v[8:9]
	;; [unrolled: 1-line block ×8, first 2 shown]
	v_add_f64_e32 v[2:3], v[4:5], v[22:23]
	v_add_f64_e32 v[0:1], v[0:1], v[6:7]
	v_and_b32_e32 v22, 0xffff, v60
	v_lshlrev_b32_e32 v23, 4, v61
	s_delay_alu instid0(VALU_DEP_2) | instskip(NEXT) | instid1(VALU_DEP_1)
	v_mad_u32_u24 v22, 0x410, v22, 0
	v_add3_u32 v22, v22, v23, v74
	v_fma_f64 v[6:7], v[28:29], s[16:17], v[16:17]
	v_fma_f64 v[10:11], v[28:29], s[16:17], v[8:9]
	;; [unrolled: 1-line block ×8, first 2 shown]
	ds_store_b128 v22, v[0:3]
	ds_store_b128 v22, v[16:19] offset:208
	ds_store_b128 v22, v[8:11] offset:416
	;; [unrolled: 1-line block ×4, first 2 shown]
.LBB0_18:
	s_wait_alu 0xfffe
	s_or_b32 exec_lo, exec_lo, s1
	global_wb scope:SCOPE_SE
	s_wait_dscnt 0x0
	s_barrier_signal -1
	s_barrier_wait -1
	global_inv scope:SCOPE_SE
	s_and_saveexec_b32 s0, vcc_lo
	s_cbranch_execz .LBB0_20
; %bb.19:
	v_mul_u32_u24_e32 v0, 6, v147
	s_mov_b32 s2, 0x37e14327
	s_mov_b32 s3, 0x3fe948f6
	;; [unrolled: 1-line block ×4, first 2 shown]
	v_lshlrev_b32_e32 v22, 4, v0
	s_mov_b32 s12, 0xaaaaaaaa
	s_mov_b32 s13, 0xbff2aaaa
	;; [unrolled: 1-line block ×4, first 2 shown]
	s_clause 0x5
	global_load_b128 v[0:3], v22, s[4:5] offset:848
	global_load_b128 v[4:7], v22, s[4:5] offset:896
	;; [unrolled: 1-line block ×6, first 2 shown]
	ds_load_b128 v[26:29], v20 offset:2080
	ds_load_b128 v[30:33], v20 offset:5200
	;; [unrolled: 1-line block ×4, first 2 shown]
	ds_load_b128 v[42:45], v21
	ds_load_b128 v[46:49], v20 offset:4160
	ds_load_b128 v[50:53], v20 offset:3120
	s_mov_b32 s4, 0x429ad128
	s_mov_b32 s5, 0xbfebfeb5
	;; [unrolled: 1-line block ×4, first 2 shown]
	s_wait_loadcnt_dscnt 0x506
	v_mul_f64_e32 v[54:55], v[26:27], v[2:3]
	s_wait_loadcnt_dscnt 0x405
	v_mul_f64_e32 v[56:57], v[30:31], v[6:7]
	;; [unrolled: 2-line block ×4, first 2 shown]
	v_mul_f64_e32 v[2:3], v[2:3], v[28:29]
	v_mul_f64_e32 v[6:7], v[6:7], v[32:33]
	;; [unrolled: 1-line block ×4, first 2 shown]
	s_wait_loadcnt_dscnt 0x101
	v_mul_f64_e32 v[20:21], v[18:19], v[48:49]
	s_wait_loadcnt_dscnt 0x0
	v_mul_f64_e32 v[62:63], v[24:25], v[52:53]
	v_mul_f64_e32 v[24:25], v[50:51], v[24:25]
	;; [unrolled: 1-line block ×3, first 2 shown]
	v_fma_f64 v[28:29], v[0:1], v[28:29], -v[54:55]
	v_fma_f64 v[32:33], v[4:5], v[32:33], -v[56:57]
	;; [unrolled: 1-line block ×4, first 2 shown]
	v_fma_f64 v[0:1], v[0:1], v[26:27], v[2:3]
	v_fma_f64 v[2:3], v[4:5], v[30:31], v[6:7]
	;; [unrolled: 1-line block ×6, first 2 shown]
	v_fma_f64 v[12:13], v[22:23], v[52:53], -v[24:25]
	v_fma_f64 v[14:15], v[16:17], v[48:49], -v[18:19]
	v_add_nc_u32_e32 v63, 0x145, v148
	v_add_nc_u32_e32 v60, 0x82, v148
	;; [unrolled: 1-line block ×3, first 2 shown]
	v_add_f64_e32 v[16:17], v[28:29], v[32:33]
	v_add_f64_e32 v[18:19], v[36:37], v[40:41]
	v_add_f64_e32 v[20:21], v[0:1], v[2:3]
	v_add_f64_e64 v[0:1], v[0:1], -v[2:3]
	v_add_f64_e32 v[22:23], v[4:5], v[6:7]
	v_add_f64_e64 v[4:5], v[4:5], -v[6:7]
	v_add_f64_e64 v[24:25], v[8:9], -v[10:11]
	v_add_f64_e32 v[8:9], v[8:9], v[10:11]
	v_add_f64_e32 v[2:3], v[14:15], v[12:13]
	v_add_f64_e64 v[12:13], v[14:15], -v[12:13]
	v_add_f64_e64 v[14:15], v[28:29], -v[32:33]
	;; [unrolled: 1-line block ×3, first 2 shown]
	v_add_f64_e32 v[6:7], v[16:17], v[18:19]
	v_add_f64_e32 v[26:27], v[20:21], v[22:23]
	v_add_f64_e64 v[36:37], v[0:1], -v[4:5]
	v_add_f64_e64 v[28:29], v[24:25], -v[0:1]
	v_add_f64_e64 v[34:35], v[22:23], -v[8:9]
	v_add_f64_e64 v[30:31], v[18:19], -v[2:3]
	v_add_f64_e64 v[38:39], v[2:3], -v[16:17]
	v_add_f64_e64 v[32:33], v[12:13], -v[14:15]
	v_add_f64_e64 v[40:41], v[14:15], -v[10:11]
	v_add_f64_e32 v[46:47], v[24:25], v[0:1]
	v_add_f64_e64 v[24:25], v[4:5], -v[24:25]
	v_add_f64_e32 v[14:15], v[12:13], v[14:15]
	v_add_f64_e64 v[12:13], v[10:11], -v[12:13]
	v_add_f64_e64 v[16:17], v[16:17], -v[18:19]
	;; [unrolled: 1-line block ×3, first 2 shown]
	v_add_f64_e32 v[6:7], v[2:3], v[6:7]
	v_add_f64_e32 v[26:27], v[8:9], v[26:27]
	v_add_f64_e64 v[8:9], v[8:9], -v[20:21]
	s_wait_alu 0xfffe
	v_mul_f64_e32 v[28:29], s[0:1], v[28:29]
	v_mul_f64_e32 v[20:21], s[2:3], v[34:35]
	;; [unrolled: 1-line block ×5, first 2 shown]
	s_mov_b32 s2, 0x36b3c0b5
	s_mov_b32 s3, 0x3fac98ee
	v_add_f64_e32 v[4:5], v[46:47], v[4:5]
	s_wait_alu 0xfffe
	v_mul_f64_e32 v[34:35], s[2:3], v[38:39]
	v_add_f64_e32 v[10:11], v[14:15], v[10:11]
	s_mov_b32 s0, 0x37c3f68c
	s_mov_b32 s1, 0xbfdc38aa
	v_add_f64_e32 v[2:3], v[44:45], v[6:7]
	v_mul_f64_e32 v[44:45], s[4:5], v[40:41]
	v_add_f64_e32 v[0:1], v[42:43], v[26:27]
	v_mul_f64_e32 v[42:43], s[2:3], v[8:9]
	v_fma_f64 v[14:15], v[24:25], s[6:7], v[28:29]
	v_fma_f64 v[28:29], v[36:37], s[4:5], -v[28:29]
	v_fma_f64 v[38:39], v[38:39], s[2:3], v[30:31]
	v_fma_f64 v[48:49], v[18:19], s[14:15], -v[20:21]
	v_fma_f64 v[46:47], v[12:13], s[6:7], v[32:33]
	s_mov_b32 s7, 0x3fd5d0dc
	v_fma_f64 v[8:9], v[8:9], s[2:3], v[20:21]
	s_wait_alu 0xfffe
	v_fma_f64 v[22:23], v[24:25], s[6:7], -v[22:23]
	v_fma_f64 v[30:31], v[16:17], s[14:15], -v[30:31]
	s_mov_b32 s15, 0x3fe77f67
	v_fma_f64 v[20:21], v[40:41], s[4:5], -v[32:33]
	s_wait_alu 0xfffe
	v_fma_f64 v[16:17], v[16:17], s[14:15], -v[34:35]
	v_mad_co_u64_u32 v[36:37], null, s10, v60, 0
	v_mad_co_u64_u32 v[40:41], null, s10, v61, 0
	v_add_nc_u32_e32 v62, 0x104, v148
	v_lshlrev_b64_e32 v[32:33], 4, v[72:73]
	v_fma_f64 v[6:7], v[6:7], s[12:13], v[2:3]
	v_fma_f64 v[12:13], v[12:13], s[6:7], -v[44:45]
	v_mad_co_u64_u32 v[44:45], null, s10, v63, 0
	v_fma_f64 v[24:25], v[26:27], s[12:13], v[0:1]
	v_fma_f64 v[18:19], v[18:19], s[14:15], -v[42:43]
	v_mad_co_u64_u32 v[26:27], null, s10, v148, 0
	v_add_nc_u32_e32 v59, 0x41, v148
	s_delay_alu instid0(VALU_DEP_2)
	v_mad_co_u64_u32 v[52:53], null, s11, v148, v[27:28]
	v_fma_f64 v[28:29], v[4:5], s[0:1], v[28:29]
	v_fma_f64 v[53:54], v[4:5], s[0:1], v[14:15]
	;; [unrolled: 1-line block ×3, first 2 shown]
	v_add_f64_e32 v[38:39], v[38:39], v[6:7]
	v_add_f64_e32 v[22:23], v[30:31], v[6:7]
	v_fma_f64 v[30:31], v[10:11], s[0:1], v[46:47]
	v_fma_f64 v[55:56], v[10:11], s[0:1], v[12:13]
	v_add_f64_e32 v[57:58], v[8:9], v[24:25]
	v_add_f64_e32 v[8:9], v[48:49], v[24:25]
	;; [unrolled: 1-line block ×3, first 2 shown]
	v_mov_b32_e32 v6, v45
	v_mad_co_u64_u32 v[34:35], null, s10, v59, 0
	v_fma_f64 v[46:47], v[10:11], s[0:1], v[20:21]
	v_add_f64_e32 v[12:13], v[18:19], v[24:25]
	v_add_co_u32 v48, vcc_lo, s8, v32
	s_wait_alu 0xfffd
	v_add_co_ci_u32_e32 v49, vcc_lo, s9, v33, vcc_lo
	v_mov_b32_e32 v27, v35
	v_mov_b32_e32 v35, v37
	;; [unrolled: 1-line block ×3, first 2 shown]
	v_mad_co_u64_u32 v[42:43], null, s10, v62, 0
	v_add_nc_u32_e32 v64, 0x186, v148
	v_mad_co_u64_u32 v[10:11], null, s11, v59, v[27:28]
	v_mad_co_u64_u32 v[14:15], null, s11, v60, v[35:36]
	v_mov_b32_e32 v27, v52
	v_mov_b32_e32 v41, v43
	v_mad_co_u64_u32 v[50:51], null, s10, v64, 0
	v_mov_b32_e32 v35, v10
	s_delay_alu instid0(VALU_DEP_4) | instskip(NEXT) | instid1(VALU_DEP_2)
	v_lshlrev_b64_e32 v[32:33], 4, v[26:27]
	v_lshlrev_b64_e32 v[34:35], 4, v[34:35]
	s_delay_alu instid0(VALU_DEP_4) | instskip(NEXT) | instid1(VALU_DEP_3)
	v_mov_b32_e32 v7, v51
	v_add_co_u32 v32, vcc_lo, v48, v32
	v_mad_co_u64_u32 v[18:19], null, s11, v61, v[37:38]
	v_mad_co_u64_u32 v[19:20], null, s11, v62, v[41:42]
	s_delay_alu instid0(VALU_DEP_4)
	v_mad_co_u64_u32 v[20:21], null, s11, v63, v[6:7]
	v_mad_co_u64_u32 v[6:7], null, s11, v64, v[7:8]
	v_add_f64_e64 v[26:27], v[38:39], -v[53:54]
	v_add_f64_e32 v[24:25], v[30:31], v[57:58]
	v_add_f64_e32 v[10:11], v[4:5], v[22:23]
	v_add_f64_e64 v[22:23], v[22:23], -v[4:5]
	v_mov_b32_e32 v45, v20
	v_add_f64_e32 v[20:21], v[55:56], v[8:9]
	v_mov_b32_e32 v37, v14
	v_mov_b32_e32 v41, v18
	;; [unrolled: 1-line block ×3, first 2 shown]
	v_add_f64_e64 v[14:15], v[16:17], -v[28:29]
	v_add_f64_e32 v[18:19], v[28:29], v[16:17]
	v_add_f64_e64 v[16:17], v[12:13], -v[46:47]
	v_add_f64_e32 v[12:13], v[46:47], v[12:13]
	v_add_f64_e64 v[8:9], v[8:9], -v[55:56]
	v_mov_b32_e32 v51, v6
	v_add_f64_e32 v[6:7], v[53:54], v[38:39]
	v_add_f64_e64 v[4:5], v[57:58], -v[30:31]
	v_lshlrev_b64_e32 v[36:37], 4, v[36:37]
	s_wait_alu 0xfffd
	v_add_co_ci_u32_e32 v33, vcc_lo, v49, v33, vcc_lo
	v_lshlrev_b64_e32 v[40:41], 4, v[40:41]
	v_add_co_u32 v34, vcc_lo, v48, v34
	s_wait_alu 0xfffd
	v_add_co_ci_u32_e32 v35, vcc_lo, v49, v35, vcc_lo
	v_lshlrev_b64_e32 v[28:29], 4, v[42:43]
	v_add_co_u32 v36, vcc_lo, v48, v36
	;; [unrolled: 4-line block ×4, first 2 shown]
	s_wait_alu 0xfffd
	v_add_co_ci_u32_e32 v29, vcc_lo, v49, v29, vcc_lo
	v_add_co_u32 v30, vcc_lo, v48, v30
	s_wait_alu 0xfffd
	v_add_co_ci_u32_e32 v31, vcc_lo, v49, v31, vcc_lo
	v_add_co_u32 v38, vcc_lo, v48, v38
	s_wait_alu 0xfffd
	v_add_co_ci_u32_e32 v39, vcc_lo, v49, v39, vcc_lo
	s_clause 0x6
	global_store_b128 v[32:33], v[0:3], off
	global_store_b128 v[34:35], v[24:27], off
	;; [unrolled: 1-line block ×7, first 2 shown]
.LBB0_20:
	s_nop 0
	s_sendmsg sendmsg(MSG_DEALLOC_VGPRS)
	s_endpgm
	.section	.rodata,"a",@progbits
	.p2align	6, 0x0
	.amdhsa_kernel fft_rtc_back_len455_factors_13_5_7_wgs_195_tpt_65_dp_ip_CI_sbrr_dirReg
		.amdhsa_group_segment_fixed_size 0
		.amdhsa_private_segment_fixed_size 0
		.amdhsa_kernarg_size 88
		.amdhsa_user_sgpr_count 2
		.amdhsa_user_sgpr_dispatch_ptr 0
		.amdhsa_user_sgpr_queue_ptr 0
		.amdhsa_user_sgpr_kernarg_segment_ptr 1
		.amdhsa_user_sgpr_dispatch_id 0
		.amdhsa_user_sgpr_private_segment_size 0
		.amdhsa_wavefront_size32 1
		.amdhsa_uses_dynamic_stack 0
		.amdhsa_enable_private_segment 0
		.amdhsa_system_sgpr_workgroup_id_x 1
		.amdhsa_system_sgpr_workgroup_id_y 0
		.amdhsa_system_sgpr_workgroup_id_z 0
		.amdhsa_system_sgpr_workgroup_info 0
		.amdhsa_system_vgpr_workitem_id 0
		.amdhsa_next_free_vgpr 189
		.amdhsa_next_free_sgpr 44
		.amdhsa_reserve_vcc 1
		.amdhsa_float_round_mode_32 0
		.amdhsa_float_round_mode_16_64 0
		.amdhsa_float_denorm_mode_32 3
		.amdhsa_float_denorm_mode_16_64 3
		.amdhsa_fp16_overflow 0
		.amdhsa_workgroup_processor_mode 1
		.amdhsa_memory_ordered 1
		.amdhsa_forward_progress 0
		.amdhsa_round_robin_scheduling 0
		.amdhsa_exception_fp_ieee_invalid_op 0
		.amdhsa_exception_fp_denorm_src 0
		.amdhsa_exception_fp_ieee_div_zero 0
		.amdhsa_exception_fp_ieee_overflow 0
		.amdhsa_exception_fp_ieee_underflow 0
		.amdhsa_exception_fp_ieee_inexact 0
		.amdhsa_exception_int_div_zero 0
	.end_amdhsa_kernel
	.text
.Lfunc_end0:
	.size	fft_rtc_back_len455_factors_13_5_7_wgs_195_tpt_65_dp_ip_CI_sbrr_dirReg, .Lfunc_end0-fft_rtc_back_len455_factors_13_5_7_wgs_195_tpt_65_dp_ip_CI_sbrr_dirReg
                                        ; -- End function
	.section	.AMDGPU.csdata,"",@progbits
; Kernel info:
; codeLenInByte = 8252
; NumSgprs: 46
; NumVgprs: 189
; ScratchSize: 0
; MemoryBound: 1
; FloatMode: 240
; IeeeMode: 1
; LDSByteSize: 0 bytes/workgroup (compile time only)
; SGPRBlocks: 5
; VGPRBlocks: 23
; NumSGPRsForWavesPerEU: 46
; NumVGPRsForWavesPerEU: 189
; Occupancy: 8
; WaveLimiterHint : 1
; COMPUTE_PGM_RSRC2:SCRATCH_EN: 0
; COMPUTE_PGM_RSRC2:USER_SGPR: 2
; COMPUTE_PGM_RSRC2:TRAP_HANDLER: 0
; COMPUTE_PGM_RSRC2:TGID_X_EN: 1
; COMPUTE_PGM_RSRC2:TGID_Y_EN: 0
; COMPUTE_PGM_RSRC2:TGID_Z_EN: 0
; COMPUTE_PGM_RSRC2:TIDIG_COMP_CNT: 0
	.text
	.p2alignl 7, 3214868480
	.fill 96, 4, 3214868480
	.type	__hip_cuid_32d668b2c208f0ae,@object ; @__hip_cuid_32d668b2c208f0ae
	.section	.bss,"aw",@nobits
	.globl	__hip_cuid_32d668b2c208f0ae
__hip_cuid_32d668b2c208f0ae:
	.byte	0                               ; 0x0
	.size	__hip_cuid_32d668b2c208f0ae, 1

	.ident	"AMD clang version 19.0.0git (https://github.com/RadeonOpenCompute/llvm-project roc-6.4.0 25133 c7fe45cf4b819c5991fe208aaa96edf142730f1d)"
	.section	".note.GNU-stack","",@progbits
	.addrsig
	.addrsig_sym __hip_cuid_32d668b2c208f0ae
	.amdgpu_metadata
---
amdhsa.kernels:
  - .args:
      - .actual_access:  read_only
        .address_space:  global
        .offset:         0
        .size:           8
        .value_kind:     global_buffer
      - .offset:         8
        .size:           8
        .value_kind:     by_value
      - .actual_access:  read_only
        .address_space:  global
        .offset:         16
        .size:           8
        .value_kind:     global_buffer
      - .actual_access:  read_only
        .address_space:  global
        .offset:         24
        .size:           8
        .value_kind:     global_buffer
      - .offset:         32
        .size:           8
        .value_kind:     by_value
      - .actual_access:  read_only
        .address_space:  global
        .offset:         40
        .size:           8
        .value_kind:     global_buffer
      - .actual_access:  read_only
        .address_space:  global
        .offset:         48
        .size:           8
        .value_kind:     global_buffer
      - .offset:         56
        .size:           4
        .value_kind:     by_value
      - .actual_access:  read_only
        .address_space:  global
        .offset:         64
        .size:           8
        .value_kind:     global_buffer
      - .actual_access:  read_only
        .address_space:  global
        .offset:         72
        .size:           8
        .value_kind:     global_buffer
      - .address_space:  global
        .offset:         80
        .size:           8
        .value_kind:     global_buffer
    .group_segment_fixed_size: 0
    .kernarg_segment_align: 8
    .kernarg_segment_size: 88
    .language:       OpenCL C
    .language_version:
      - 2
      - 0
    .max_flat_workgroup_size: 195
    .name:           fft_rtc_back_len455_factors_13_5_7_wgs_195_tpt_65_dp_ip_CI_sbrr_dirReg
    .private_segment_fixed_size: 0
    .sgpr_count:     46
    .sgpr_spill_count: 0
    .symbol:         fft_rtc_back_len455_factors_13_5_7_wgs_195_tpt_65_dp_ip_CI_sbrr_dirReg.kd
    .uniform_work_group_size: 1
    .uses_dynamic_stack: false
    .vgpr_count:     189
    .vgpr_spill_count: 0
    .wavefront_size: 32
    .workgroup_processor_mode: 1
amdhsa.target:   amdgcn-amd-amdhsa--gfx1201
amdhsa.version:
  - 1
  - 2
...

	.end_amdgpu_metadata
